;; amdgpu-corpus repo=ROCm/rocFFT kind=compiled arch=gfx1030 opt=O3
	.text
	.amdgcn_target "amdgcn-amd-amdhsa--gfx1030"
	.amdhsa_code_object_version 6
	.protected	fft_rtc_back_len640_factors_8_10_8_wgs_128_tpt_64_halfLds_sp_ip_CI_unitstride_sbrr_dirReg ; -- Begin function fft_rtc_back_len640_factors_8_10_8_wgs_128_tpt_64_halfLds_sp_ip_CI_unitstride_sbrr_dirReg
	.globl	fft_rtc_back_len640_factors_8_10_8_wgs_128_tpt_64_halfLds_sp_ip_CI_unitstride_sbrr_dirReg
	.p2align	8
	.type	fft_rtc_back_len640_factors_8_10_8_wgs_128_tpt_64_halfLds_sp_ip_CI_unitstride_sbrr_dirReg,@function
fft_rtc_back_len640_factors_8_10_8_wgs_128_tpt_64_halfLds_sp_ip_CI_unitstride_sbrr_dirReg: ; @fft_rtc_back_len640_factors_8_10_8_wgs_128_tpt_64_halfLds_sp_ip_CI_unitstride_sbrr_dirReg
; %bb.0:
	s_clause 0x2
	s_load_dwordx4 s[8:11], s[4:5], 0x0
	s_load_dwordx2 s[2:3], s[4:5], 0x50
	s_load_dwordx2 s[12:13], s[4:5], 0x18
	v_lshrrev_b32_e32 v1, 6, v0
	v_mov_b32_e32 v3, 0
	v_lshl_or_b32 v5, s6, 1, v1
	v_mov_b32_e32 v1, 0
	v_mov_b32_e32 v6, v3
	v_mov_b32_e32 v2, 0
	s_waitcnt lgkmcnt(0)
	v_cmp_lt_u64_e64 s0, s[10:11], 2
	s_and_b32 vcc_lo, exec_lo, s0
	s_cbranch_vccnz .LBB0_8
; %bb.1:
	s_load_dwordx2 s[0:1], s[4:5], 0x10
	v_mov_b32_e32 v1, 0
	s_add_u32 s6, s12, 8
	v_mov_b32_e32 v2, 0
	s_addc_u32 s7, s13, 0
	s_mov_b64 s[16:17], 1
	s_waitcnt lgkmcnt(0)
	s_add_u32 s14, s0, 8
	s_addc_u32 s15, s1, 0
.LBB0_2:                                ; =>This Inner Loop Header: Depth=1
	s_load_dwordx2 s[18:19], s[14:15], 0x0
                                        ; implicit-def: $vgpr7_vgpr8
	s_mov_b32 s0, exec_lo
	s_waitcnt lgkmcnt(0)
	v_or_b32_e32 v4, s19, v6
	v_cmpx_ne_u64_e32 0, v[3:4]
	s_xor_b32 s1, exec_lo, s0
	s_cbranch_execz .LBB0_4
; %bb.3:                                ;   in Loop: Header=BB0_2 Depth=1
	v_cvt_f32_u32_e32 v4, s18
	v_cvt_f32_u32_e32 v7, s19
	s_sub_u32 s0, 0, s18
	s_subb_u32 s20, 0, s19
	v_fmac_f32_e32 v4, 0x4f800000, v7
	v_rcp_f32_e32 v4, v4
	v_mul_f32_e32 v4, 0x5f7ffffc, v4
	v_mul_f32_e32 v7, 0x2f800000, v4
	v_trunc_f32_e32 v7, v7
	v_fmac_f32_e32 v4, 0xcf800000, v7
	v_cvt_u32_f32_e32 v7, v7
	v_cvt_u32_f32_e32 v4, v4
	v_mul_lo_u32 v8, s0, v7
	v_mul_hi_u32 v9, s0, v4
	v_mul_lo_u32 v10, s20, v4
	v_add_nc_u32_e32 v8, v9, v8
	v_mul_lo_u32 v9, s0, v4
	v_add_nc_u32_e32 v8, v8, v10
	v_mul_hi_u32 v10, v4, v9
	v_mul_lo_u32 v11, v4, v8
	v_mul_hi_u32 v12, v4, v8
	v_mul_hi_u32 v13, v7, v9
	v_mul_lo_u32 v9, v7, v9
	v_mul_hi_u32 v14, v7, v8
	v_mul_lo_u32 v8, v7, v8
	v_add_co_u32 v10, vcc_lo, v10, v11
	v_add_co_ci_u32_e32 v11, vcc_lo, 0, v12, vcc_lo
	v_add_co_u32 v9, vcc_lo, v10, v9
	v_add_co_ci_u32_e32 v9, vcc_lo, v11, v13, vcc_lo
	v_add_co_ci_u32_e32 v10, vcc_lo, 0, v14, vcc_lo
	v_add_co_u32 v8, vcc_lo, v9, v8
	v_add_co_ci_u32_e32 v9, vcc_lo, 0, v10, vcc_lo
	v_add_co_u32 v4, vcc_lo, v4, v8
	v_add_co_ci_u32_e32 v7, vcc_lo, v7, v9, vcc_lo
	v_mul_hi_u32 v8, s0, v4
	v_mul_lo_u32 v10, s20, v4
	v_mul_lo_u32 v9, s0, v7
	v_add_nc_u32_e32 v8, v8, v9
	v_mul_lo_u32 v9, s0, v4
	v_add_nc_u32_e32 v8, v8, v10
	v_mul_hi_u32 v10, v4, v9
	v_mul_lo_u32 v11, v4, v8
	v_mul_hi_u32 v12, v4, v8
	v_mul_hi_u32 v13, v7, v9
	v_mul_lo_u32 v9, v7, v9
	v_mul_hi_u32 v14, v7, v8
	v_mul_lo_u32 v8, v7, v8
	v_add_co_u32 v10, vcc_lo, v10, v11
	v_add_co_ci_u32_e32 v11, vcc_lo, 0, v12, vcc_lo
	v_add_co_u32 v9, vcc_lo, v10, v9
	v_add_co_ci_u32_e32 v9, vcc_lo, v11, v13, vcc_lo
	v_add_co_ci_u32_e32 v10, vcc_lo, 0, v14, vcc_lo
	v_add_co_u32 v8, vcc_lo, v9, v8
	v_add_co_ci_u32_e32 v9, vcc_lo, 0, v10, vcc_lo
	v_add_co_u32 v4, vcc_lo, v4, v8
	v_add_co_ci_u32_e32 v11, vcc_lo, v7, v9, vcc_lo
	v_mul_hi_u32 v13, v5, v4
	v_mad_u64_u32 v[9:10], null, v6, v4, 0
	v_mad_u64_u32 v[7:8], null, v5, v11, 0
	;; [unrolled: 1-line block ×3, first 2 shown]
	v_add_co_u32 v4, vcc_lo, v13, v7
	v_add_co_ci_u32_e32 v7, vcc_lo, 0, v8, vcc_lo
	v_add_co_u32 v4, vcc_lo, v4, v9
	v_add_co_ci_u32_e32 v4, vcc_lo, v7, v10, vcc_lo
	v_add_co_ci_u32_e32 v7, vcc_lo, 0, v12, vcc_lo
	v_add_co_u32 v4, vcc_lo, v4, v11
	v_add_co_ci_u32_e32 v9, vcc_lo, 0, v7, vcc_lo
	v_mul_lo_u32 v10, s19, v4
	v_mad_u64_u32 v[7:8], null, s18, v4, 0
	v_mul_lo_u32 v11, s18, v9
	v_sub_co_u32 v7, vcc_lo, v5, v7
	v_add3_u32 v8, v8, v11, v10
	v_sub_nc_u32_e32 v10, v6, v8
	v_subrev_co_ci_u32_e64 v10, s0, s19, v10, vcc_lo
	v_add_co_u32 v11, s0, v4, 2
	v_add_co_ci_u32_e64 v12, s0, 0, v9, s0
	v_sub_co_u32 v13, s0, v7, s18
	v_sub_co_ci_u32_e32 v8, vcc_lo, v6, v8, vcc_lo
	v_subrev_co_ci_u32_e64 v10, s0, 0, v10, s0
	v_cmp_le_u32_e32 vcc_lo, s18, v13
	v_cmp_eq_u32_e64 s0, s19, v8
	v_cndmask_b32_e64 v13, 0, -1, vcc_lo
	v_cmp_le_u32_e32 vcc_lo, s19, v10
	v_cndmask_b32_e64 v14, 0, -1, vcc_lo
	v_cmp_le_u32_e32 vcc_lo, s18, v7
	;; [unrolled: 2-line block ×3, first 2 shown]
	v_cndmask_b32_e64 v15, 0, -1, vcc_lo
	v_cmp_eq_u32_e32 vcc_lo, s19, v10
	v_cndmask_b32_e64 v7, v15, v7, s0
	v_cndmask_b32_e32 v10, v14, v13, vcc_lo
	v_add_co_u32 v13, vcc_lo, v4, 1
	v_add_co_ci_u32_e32 v14, vcc_lo, 0, v9, vcc_lo
	v_cmp_ne_u32_e32 vcc_lo, 0, v10
	v_cndmask_b32_e32 v8, v14, v12, vcc_lo
	v_cndmask_b32_e32 v10, v13, v11, vcc_lo
	v_cmp_ne_u32_e32 vcc_lo, 0, v7
	v_cndmask_b32_e32 v8, v9, v8, vcc_lo
	v_cndmask_b32_e32 v7, v4, v10, vcc_lo
.LBB0_4:                                ;   in Loop: Header=BB0_2 Depth=1
	s_andn2_saveexec_b32 s0, s1
	s_cbranch_execz .LBB0_6
; %bb.5:                                ;   in Loop: Header=BB0_2 Depth=1
	v_cvt_f32_u32_e32 v4, s18
	s_sub_i32 s1, 0, s18
	v_rcp_iflag_f32_e32 v4, v4
	v_mul_f32_e32 v4, 0x4f7ffffe, v4
	v_cvt_u32_f32_e32 v4, v4
	v_mul_lo_u32 v7, s1, v4
	v_mul_hi_u32 v7, v4, v7
	v_add_nc_u32_e32 v4, v4, v7
	v_mul_hi_u32 v4, v5, v4
	v_mul_lo_u32 v7, v4, s18
	v_add_nc_u32_e32 v8, 1, v4
	v_sub_nc_u32_e32 v7, v5, v7
	v_subrev_nc_u32_e32 v9, s18, v7
	v_cmp_le_u32_e32 vcc_lo, s18, v7
	v_cndmask_b32_e32 v7, v7, v9, vcc_lo
	v_cndmask_b32_e32 v4, v4, v8, vcc_lo
	v_cmp_le_u32_e32 vcc_lo, s18, v7
	v_add_nc_u32_e32 v8, 1, v4
	v_cndmask_b32_e32 v7, v4, v8, vcc_lo
	v_mov_b32_e32 v8, v3
.LBB0_6:                                ;   in Loop: Header=BB0_2 Depth=1
	s_or_b32 exec_lo, exec_lo, s0
	s_load_dwordx2 s[0:1], s[6:7], 0x0
	v_mul_lo_u32 v4, v8, s18
	v_mul_lo_u32 v11, v7, s19
	v_mad_u64_u32 v[9:10], null, v7, s18, 0
	s_add_u32 s16, s16, 1
	s_addc_u32 s17, s17, 0
	s_add_u32 s6, s6, 8
	s_addc_u32 s7, s7, 0
	;; [unrolled: 2-line block ×3, first 2 shown]
	v_add3_u32 v4, v10, v11, v4
	v_sub_co_u32 v5, vcc_lo, v5, v9
	v_sub_co_ci_u32_e32 v4, vcc_lo, v6, v4, vcc_lo
	s_waitcnt lgkmcnt(0)
	v_mul_lo_u32 v6, s1, v5
	v_mul_lo_u32 v4, s0, v4
	v_mad_u64_u32 v[1:2], null, s0, v5, v[1:2]
	v_cmp_ge_u64_e64 s0, s[16:17], s[10:11]
	s_and_b32 vcc_lo, exec_lo, s0
	v_add3_u32 v2, v6, v2, v4
	s_cbranch_vccnz .LBB0_9
; %bb.7:                                ;   in Loop: Header=BB0_2 Depth=1
	v_mov_b32_e32 v5, v7
	v_mov_b32_e32 v6, v8
	s_branch .LBB0_2
.LBB0_8:
	v_mov_b32_e32 v8, v6
	v_mov_b32_e32 v7, v5
.LBB0_9:
	s_lshl_b64 s[0:1], s[10:11], 3
	v_and_b32_e32 v43, 63, v0
	s_add_u32 s0, s12, s0
	s_addc_u32 s1, s13, s1
                                        ; implicit-def: $vgpr37
	s_load_dwordx2 s[0:1], s[0:1], 0x0
	s_load_dwordx2 s[4:5], s[4:5], 0x20
	v_or_b32_e32 v44, 64, v43
	s_waitcnt lgkmcnt(0)
	v_mul_lo_u32 v3, s0, v8
	v_mul_lo_u32 v4, s1, v7
	v_mad_u64_u32 v[1:2], null, s0, v7, v[1:2]
	v_cmp_gt_u64_e32 vcc_lo, s[4:5], v[7:8]
	v_cmp_le_u64_e64 s0, s[4:5], v[7:8]
                                        ; implicit-def: $sgpr4
	v_add3_u32 v2, v4, v2, v3
	s_and_saveexec_b32 s1, s0
	s_xor_b32 s0, exec_lo, s1
; %bb.10:
	v_or_b32_e32 v37, 64, v43
	s_mov_b32 s4, 0
; %bb.11:
	s_or_saveexec_b32 s1, s0
	v_lshlrev_b64 v[15:16], 3, v[1:2]
	v_mov_b32_e32 v5, s4
	v_lshlrev_b32_e32 v45, 3, v43
	v_mov_b32_e32 v4, s4
	v_mov_b32_e32 v20, s4
	;; [unrolled: 1-line block ×7, first 2 shown]
                                        ; implicit-def: $vgpr7
                                        ; implicit-def: $vgpr24
                                        ; implicit-def: $vgpr9
                                        ; implicit-def: $vgpr22
                                        ; implicit-def: $vgpr14
                                        ; implicit-def: $vgpr32
                                        ; implicit-def: $vgpr36
                                        ; implicit-def: $vgpr18
                                        ; implicit-def: $vgpr26
                                        ; implicit-def: $vgpr30
                                        ; implicit-def: $vgpr28
                                        ; implicit-def: $vgpr34
	s_xor_b32 exec_lo, exec_lo, s1
	s_cbranch_execz .LBB0_15
; %bb.12:
	v_add_co_u32 v3, s0, s2, v15
	v_add_co_ci_u32_e64 v10, s0, s3, v16, s0
	v_or_b32_e32 v1, 0xa00, v45
	v_add_co_u32 v39, s0, v3, v45
	v_add_co_ci_u32_e64 v40, s0, 0, v10, s0
	v_add_co_u32 v1, s0, v3, v1
	v_add_co_ci_u32_e64 v2, s0, 0, v10, s0
	v_add_co_u32 v41, s0, 0x800, v39
	v_add_co_ci_u32_e64 v42, s0, 0, v40, s0
	v_add_co_u32 v37, s0, 0x1000, v39
	v_add_co_ci_u32_e64 v38, s0, 0, v40, s0
	s_clause 0x7
	global_load_dwordx2 v[6:7], v[39:40], off
	global_load_dwordx2 v[23:24], v[39:40], off offset:640
	global_load_dwordx2 v[8:9], v[39:40], off offset:1280
	;; [unrolled: 1-line block ×3, first 2 shown]
	global_load_dwordx2 v[13:14], v[1:2], off
	global_load_dwordx2 v[31:32], v[41:42], off offset:1152
	global_load_dwordx2 v[35:36], v[41:42], off offset:1792
	;; [unrolled: 1-line block ×3, first 2 shown]
	v_mov_b32_e32 v1, 0
	v_mov_b32_e32 v2, 0
	;; [unrolled: 1-line block ×8, first 2 shown]
	s_mov_b32 s4, exec_lo
                                        ; implicit-def: $vgpr27
                                        ; implicit-def: $vgpr29
                                        ; implicit-def: $vgpr25
                                        ; implicit-def: $vgpr17
	v_cmpx_gt_u32_e32 0x50, v44
; %bb.13:
	v_lshl_or_b32 v1, v43, 3, 0xc00
	v_add_co_u32 v17, s0, v3, v1
	v_add_co_ci_u32_e64 v18, s0, 0, v10, s0
	s_clause 0x7
	global_load_dwordx2 v[4:5], v[39:40], off offset:512
	global_load_dwordx2 v[19:20], v[39:40], off offset:1152
	;; [unrolled: 1-line block ×6, first 2 shown]
	global_load_dwordx2 v[17:18], v[17:18], off
	global_load_dwordx2 v[27:28], v[37:38], off offset:896
; %bb.14:
	s_or_b32 exec_lo, exec_lo, s4
	v_mov_b32_e32 v37, v44
.LBB0_15:
	s_or_b32 exec_lo, exec_lo, s1
	s_waitcnt vmcnt(3)
	v_sub_f32_e32 v3, v6, v13
	s_waitcnt vmcnt(1)
	v_sub_f32_e32 v13, v8, v35
	v_sub_f32_e32 v35, v9, v36
	;; [unrolled: 1-line block ×3, first 2 shown]
	s_waitcnt vmcnt(0)
	v_sub_f32_e32 v31, v21, v33
	v_fma_f32 v33, v6, 2.0, -v3
	v_fma_f32 v6, v8, 2.0, -v13
	v_sub_f32_e32 v8, v24, v32
	v_sub_f32_e32 v34, v22, v34
	v_fma_f32 v32, v23, 2.0, -v10
	v_fma_f32 v21, v21, 2.0, -v31
	v_sub_f32_e32 v36, v33, v6
	v_add_f32_e32 v38, v3, v35
	v_fma_f32 v23, v24, 2.0, -v8
	v_add_f32_e32 v24, v10, v34
	v_sub_f32_e32 v6, v32, v21
	v_fma_f32 v21, v33, 2.0, -v36
	v_fma_f32 v3, v3, 2.0, -v38
	v_sub_f32_e32 v33, v8, v31
	v_fma_f32 v10, v10, 2.0, -v24
	v_fma_f32 v31, v32, 2.0, -v6
	;; [unrolled: 1-line block ×3, first 2 shown]
	v_and_b32_e32 v32, 64, v0
	v_fma_f32 v8, v8, 2.0, -v33
	v_fmamk_f32 v41, v10, 0xbf3504f3, v3
	v_sub_f32_e32 v40, v21, v31
	v_sub_f32_e32 v31, v23, v22
	v_fmamk_f32 v49, v24, 0x3f3504f3, v38
	v_mul_f32_e32 v22, 0x3f3504f3, v8
	v_fmac_f32_e32 v41, 0x3f3504f3, v8
	v_mul_f32_e32 v8, 0x3f3504f3, v24
	v_sub_f32_e32 v24, v11, v29
	v_cmp_ne_u32_e64 s0, 0, v32
	v_fma_f32 v46, v21, 2.0, -v40
	v_fma_f32 v47, v3, 2.0, -v41
	v_sub_f32_e32 v3, v4, v17
	v_mul_f32_e32 v21, 0x3f3504f3, v10
	v_sub_f32_e32 v10, v19, v25
	v_sub_f32_e32 v32, v12, v30
	;; [unrolled: 1-line block ×3, first 2 shown]
	v_fma_f32 v4, v4, 2.0, -v3
	v_sub_f32_e32 v30, v20, v26
	v_fma_f32 v11, v11, 2.0, -v24
	v_sub_f32_e32 v26, v2, v28
	v_mul_f32_e32 v17, 0x3f3504f3, v33
	v_fmac_f32_e32 v49, 0x3f3504f3, v33
	v_fma_f32 v19, v19, 2.0, -v10
	v_fma_f32 v1, v1, 2.0, -v25
	v_fma_f32 v27, v20, 2.0, -v30
	v_sub_f32_e32 v11, v4, v11
	v_add_f32_e32 v33, v3, v32
	v_fma_f32 v2, v2, 2.0, -v26
	v_add_f32_e32 v39, v10, v26
	v_sub_f32_e32 v28, v19, v1
	v_fma_f32 v20, v4, 2.0, -v11
	v_fma_f32 v26, v3, 2.0, -v33
	v_sub_f32_e32 v25, v30, v25
	v_fma_f32 v3, v10, 2.0, -v39
	v_sub_f32_e32 v29, v27, v2
	v_fmamk_f32 v4, v39, 0x3f3504f3, v33
	v_cndmask_b32_e64 v42, 0, 0x280, s0
	v_add_f32_e32 v48, v36, v31
	v_fma_f32 v1, v19, 2.0, -v28
	v_fma_f32 v10, v30, 2.0, -v25
	v_fmamk_f32 v2, v3, 0xbf3504f3, v26
	v_mul_f32_e32 v34, 0x3f3504f3, v3
	v_add_f32_e32 v3, v11, v29
	v_fmac_f32_e32 v4, 0x3f3504f3, v25
	v_lshl_add_u32 v19, v43, 5, 0
	v_fma_f32 v50, v36, 2.0, -v48
	v_fma_f32 v51, v38, 2.0, -v49
	v_sub_f32_e32 v1, v20, v1
	v_mul_f32_e32 v36, 0x3f3504f3, v10
	v_fmac_f32_e32 v2, 0x3f3504f3, v10
	v_fma_f32 v10, v11, 2.0, -v3
	v_mul_f32_e32 v38, 0x3f3504f3, v39
	v_mul_f32_e32 v39, 0x3f3504f3, v25
	v_fma_f32 v11, v33, 2.0, -v4
	v_lshl_add_u32 v30, v42, 2, v19
	v_cmp_gt_u32_e64 s0, 16, v43
	v_lshlrev_b32_e32 v25, 2, v42
	ds_write2_b64 v30, v[46:47], v[50:51] offset1:1
	ds_write2_b64 v30, v[40:41], v[48:49] offset0:2 offset1:3
	s_and_saveexec_b32 s1, s0
	s_cbranch_execz .LBB0_17
; %bb.16:
	v_lshlrev_b32_e32 v33, 5, v37
	v_fma_f32 v41, v26, 2.0, -v2
	v_fma_f32 v40, v20, 2.0, -v1
	v_add3_u32 v20, 0, v33, v25
	ds_write2_b64 v20, v[40:41], v[10:11] offset1:1
	ds_write2_b64 v20, v[1:2], v[3:4] offset0:2 offset1:3
.LBB0_17:
	s_or_b32 exec_lo, exec_lo, s1
	v_sub_f32_e32 v14, v7, v14
	v_fma_f32 v9, v9, 2.0, -v35
	v_fma_f32 v20, v23, 2.0, -v31
	v_sub_f32_e32 v35, v5, v18
	v_lshlrev_b32_e32 v23, 2, v43
	v_fma_f32 v7, v7, 2.0, -v14
	v_sub_f32_e32 v13, v14, v13
	v_fma_f32 v18, v12, 2.0, -v32
	v_lshl_add_u32 v12, v37, 2, 0
	v_fma_f32 v5, v5, 2.0, -v35
	v_sub_f32_e32 v42, v7, v9
	v_fma_f32 v9, v14, 2.0, -v13
	v_mul_i32_i24_e32 v14, 0xffffffe4, v43
	v_add3_u32 v33, 0, v25, v23
	v_add_nc_u32_e32 v31, v12, v25
	v_fma_f32 v7, v7, 2.0, -v42
	v_sub_f32_e32 v22, v9, v22
	v_add3_u32 v32, v19, v14, v25
	s_waitcnt lgkmcnt(0)
	v_sub_f32_e32 v52, v35, v24
	v_sub_f32_e32 v40, v7, v20
	;; [unrolled: 1-line block ×3, first 2 shown]
	v_add_f32_e32 v47, v13, v17
	v_sub_f32_e32 v53, v5, v18
	s_barrier
	buffer_gl0_inv
	v_fma_f32 v49, v9, 2.0, -v41
	ds_read_b32 v9, v33
	ds_read_b32 v26, v31
	ds_read2st64_b32 v[23:24], v32 offset0:2 offset1:3
	ds_read2st64_b32 v[21:22], v32 offset0:4 offset1:5
	;; [unrolled: 1-line block ×4, first 2 shown]
	v_sub_f32_e32 v46, v42, v6
	v_fma_f32 v35, v35, 2.0, -v52
	v_add_f32_e32 v6, v52, v39
	v_fma_f32 v48, v7, 2.0, -v40
	v_sub_f32_e32 v47, v47, v8
	v_fma_f32 v39, v5, 2.0, -v53
	v_fma_f32 v5, v27, 2.0, -v29
	v_sub_f32_e32 v14, v35, v36
	v_sub_f32_e32 v7, v53, v28
	;; [unrolled: 1-line block ×3, first 2 shown]
	v_fma_f32 v50, v42, 2.0, -v46
	v_fma_f32 v51, v13, 2.0, -v47
	v_sub_f32_e32 v5, v39, v5
	v_sub_f32_e32 v6, v14, v34
	v_fma_f32 v13, v53, 2.0, -v7
	v_fma_f32 v14, v52, 2.0, -v8
	s_waitcnt lgkmcnt(0)
	s_barrier
	buffer_gl0_inv
	ds_write2_b64 v30, v[48:49], v[50:51] offset1:1
	ds_write2_b64 v30, v[40:41], v[46:47] offset0:2 offset1:3
	s_and_saveexec_b32 s1, s0
	s_cbranch_execz .LBB0_19
; %bb.18:
	v_mul_i32_i24_e32 v29, 28, v37
	v_fma_f32 v27, v39, 2.0, -v5
	v_fma_f32 v28, v35, 2.0, -v6
	v_add3_u32 v12, v12, v29, v25
	ds_write2_b64 v12, v[27:28], v[13:14] offset1:1
	ds_write2_b64 v12, v[5:6], v[7:8] offset0:2 offset1:3
.LBB0_19:
	s_or_b32 exec_lo, exec_lo, s1
	v_and_b32_e32 v0, 7, v0
	s_waitcnt lgkmcnt(0)
	s_barrier
	buffer_gl0_inv
	v_add_nc_u32_e32 v27, 0x200, v32
	v_mul_u32_u24_e32 v12, 9, v0
	v_add_nc_u32_e32 v28, 0x400, v32
	v_lshlrev_b32_e32 v12, 3, v12
	s_clause 0x4
	global_load_dwordx4 v[46:49], v12, s[8:9]
	global_load_dwordx4 v[50:53], v12, s[8:9] offset:16
	global_load_dwordx4 v[54:57], v12, s[8:9] offset:32
	;; [unrolled: 1-line block ×3, first 2 shown]
	global_load_dwordx2 v[35:36], v12, s[8:9] offset:64
	v_lshrrev_b32_e32 v12, 3, v43
	ds_read_b32 v34, v31
	ds_read2st64_b32 v[41:42], v32 offset0:2 offset1:3
	ds_read2st64_b32 v[62:63], v32 offset0:4 offset1:5
	v_mul_u32_u24_e32 v12, 0x50, v12
	v_or_b32_e32 v0, v12, v0
	ds_read2st64_b32 v[64:65], v32 offset0:6 offset1:7
	ds_read_b32 v12, v33
	ds_read2st64_b32 v[66:67], v32 offset0:8 offset1:9
	s_waitcnt vmcnt(0) lgkmcnt(0)
	s_barrier
	buffer_gl0_inv
	v_lshlrev_b32_e32 v0, 2, v0
	v_add3_u32 v25, 0, v0, v25
	v_mul_f32_e32 v29, v34, v47
	v_mul_f32_e32 v0, v26, v47
	;; [unrolled: 1-line block ×16, first 2 shown]
	v_fmac_f32_e32 v29, v26, v46
	v_fma_f32 v26, v34, v46, -v0
	v_fmac_f32_e32 v39, v23, v48
	v_fmac_f32_e32 v68, v24, v50
	;; [unrolled: 1-line block ×4, first 2 shown]
	v_fma_f32 v34, v63, v54, -v55
	v_fmac_f32_e32 v40, v19, v56
	v_fmac_f32_e32 v69, v20, v58
	v_fma_f32 v24, v65, v58, -v59
	v_fmac_f32_e32 v49, v17, v60
	v_mul_f32_e32 v57, v19, v57
	v_fma_f32 v41, v41, v48, -v38
	v_fma_f32 v38, v42, v50, -v47
	v_fmac_f32_e32 v70, v18, v35
	v_fma_f32 v23, v67, v35, -v36
	v_mul_f32_e32 v61, v17, v61
	v_add_f32_e32 v17, v30, v40
	v_add_f32_e32 v22, v39, v49
	;; [unrolled: 1-line block ×5, first 2 shown]
	v_fma_f32 v42, v62, v52, -v51
	v_fma_f32 v46, v64, v56, -v57
	v_sub_f32_e32 v20, v39, v30
	v_sub_f32_e32 v21, v49, v40
	;; [unrolled: 1-line block ×6, first 2 shown]
	v_add_f32_e32 v64, v38, v23
	v_fma_f32 v47, v66, v60, -v61
	v_add_f32_e32 v0, v9, v39
	v_sub_f32_e32 v55, v53, v68
	v_sub_f32_e32 v58, v69, v70
	;; [unrolled: 1-line block ×3, first 2 shown]
	v_fma_f32 v17, -0.5, v17, v9
	v_fmac_f32_e32 v9, -0.5, v22
	v_add_f32_e32 v22, v48, v53
	v_fma_f32 v48, -0.5, v50, v29
	v_fma_f32 v50, -0.5, v59, v26
	v_add_f32_e32 v54, v68, v70
	v_sub_f32_e32 v61, v53, v69
	v_add_f32_e32 v20, v20, v21
	v_add_f32_e32 v21, v35, v36
	;; [unrolled: 1-line block ×3, first 2 shown]
	v_fma_f32 v51, -0.5, v64, v26
	v_sub_f32_e32 v56, v38, v23
	v_sub_f32_e32 v62, v38, v34
	;; [unrolled: 1-line block ×3, first 2 shown]
	v_add_f32_e32 v36, v55, v58
	v_fmamk_f32 v55, v60, 0x3f737871, v50
	v_sub_f32_e32 v18, v41, v47
	v_sub_f32_e32 v19, v42, v46
	;; [unrolled: 1-line block ×5, first 2 shown]
	v_fmac_f32_e32 v29, -0.5, v54
	v_fmamk_f32 v54, v61, 0xbf737871, v51
	v_fmac_f32_e32 v51, 0x3f737871, v61
	v_fmac_f32_e32 v50, 0xbf737871, v60
	v_add_f32_e32 v58, v62, v63
	v_fmamk_f32 v52, v56, 0xbf737871, v48
	v_fmac_f32_e32 v55, 0x3f167918, v61
	v_add_f32_e32 v59, v65, v66
	v_fmamk_f32 v62, v18, 0xbf737871, v17
	v_fmac_f32_e32 v17, 0x3f737871, v18
	v_fmamk_f32 v63, v19, 0x3f737871, v9
	v_fmac_f32_e32 v9, 0xbf737871, v19
	;; [unrolled: 2-line block ×3, first 2 shown]
	v_fmac_f32_e32 v54, 0x3f167918, v60
	v_fmac_f32_e32 v51, 0xbf167918, v60
	;; [unrolled: 1-line block ×4, first 2 shown]
	v_add_f32_e32 v0, v0, v30
	v_fmac_f32_e32 v52, 0xbf167918, v57
	v_fmac_f32_e32 v55, 0x3e9e377a, v58
	v_fmac_f32_e32 v62, 0xbf167918, v19
	v_fmac_f32_e32 v17, 0x3f167918, v19
	v_fmac_f32_e32 v63, 0xbf167918, v18
	v_fmac_f32_e32 v9, 0x3f167918, v18
	v_fmac_f32_e32 v53, 0xbf167918, v56
	v_fmac_f32_e32 v29, 0x3f167918, v56
	v_fmac_f32_e32 v54, 0x3e9e377a, v59
	v_fmac_f32_e32 v51, 0x3e9e377a, v59
	v_add_f32_e32 v22, v22, v69
	v_fmac_f32_e32 v48, 0x3f167918, v57
	v_fmac_f32_e32 v50, 0x3e9e377a, v58
	v_add_f32_e32 v0, v0, v40
	v_fmac_f32_e32 v52, 0x3e9e377a, v35
	v_mul_f32_e32 v19, 0xbf167918, v55
	v_fmac_f32_e32 v62, 0x3e9e377a, v20
	v_fmac_f32_e32 v17, 0x3e9e377a, v20
	;; [unrolled: 1-line block ×6, first 2 shown]
	v_mul_f32_e32 v20, 0xbf737871, v54
	v_mul_f32_e32 v21, 0xbf737871, v51
	v_add_f32_e32 v18, v22, v70
	v_fmac_f32_e32 v48, 0x3e9e377a, v35
	v_mul_f32_e32 v22, 0xbf167918, v50
	v_add_f32_e32 v0, v0, v49
	v_fmac_f32_e32 v19, 0x3f4f1bbd, v52
	v_fmac_f32_e32 v20, 0x3e9e377a, v53
	v_fmamk_f32 v21, v29, 0xbe9e377a, v21
	v_fmamk_f32 v22, v48, 0xbf4f1bbd, v22
	v_add_f32_e32 v35, v0, v18
	v_add_f32_e32 v36, v62, v19
	;; [unrolled: 1-line block ×4, first 2 shown]
	v_sub_f32_e32 v18, v0, v18
	v_add_f32_e32 v58, v17, v22
	v_sub_f32_e32 v19, v62, v19
	v_sub_f32_e32 v20, v63, v20
	;; [unrolled: 1-line block ×4, first 2 shown]
	ds_write2_b32 v25, v35, v36 offset1:8
	ds_write2_b32 v25, v56, v57 offset0:16 offset1:24
	ds_write2_b32 v25, v58, v18 offset0:32 offset1:40
	;; [unrolled: 1-line block ×4, first 2 shown]
	s_waitcnt lgkmcnt(0)
	s_barrier
	buffer_gl0_inv
	ds_read2_b32 v[19:20], v32 offset0:80 offset1:160
	ds_read2_b32 v[17:18], v27 offset0:112 offset1:192
	;; [unrolled: 1-line block ×3, first 2 shown]
	ds_read_b32 v35, v33
	ds_read_b32 v36, v32 offset:2240
	s_and_saveexec_b32 s1, s0
	s_cbranch_execz .LBB0_21
; %bb.20:
	ds_read2_b32 v[56:57], v28 offset0:48 offset1:128
	v_add_nc_u32_e32 v1, 0x600, v32
	ds_read2_b32 v[9:10], v32 offset0:144 offset1:224
	ds_read_b32 v0, v31
	ds_read_b32 v4, v32 offset:2496
	ds_read2_b32 v[2:3], v1 offset0:80 offset1:160
	s_waitcnt lgkmcnt(4)
	v_mov_b32_e32 v11, v56
	v_mov_b32_e32 v1, v57
.LBB0_21:
	s_or_b32 exec_lo, exec_lo, s1
	v_add_f32_e32 v56, v12, v41
	v_add_f32_e32 v57, v42, v46
	;; [unrolled: 1-line block ×3, first 2 shown]
	v_sub_f32_e32 v39, v39, v49
	v_sub_f32_e32 v30, v30, v40
	v_add_f32_e32 v56, v56, v42
	v_fma_f32 v57, -0.5, v57, v12
	v_fmac_f32_e32 v12, -0.5, v58
	v_add_f32_e32 v26, v26, v38
	v_sub_f32_e32 v49, v41, v42
	v_add_f32_e32 v40, v56, v46
	v_fmamk_f32 v56, v39, 0x3f737871, v57
	v_fmac_f32_e32 v57, 0xbf737871, v39
	v_fmamk_f32 v58, v30, 0xbf737871, v12
	v_sub_f32_e32 v41, v42, v41
	v_sub_f32_e32 v42, v46, v47
	v_fmac_f32_e32 v12, 0x3f737871, v30
	v_sub_f32_e32 v59, v47, v46
	v_add_f32_e32 v26, v26, v34
	v_fmac_f32_e32 v56, 0x3f167918, v30
	v_fmac_f32_e32 v57, 0xbf167918, v30
	;; [unrolled: 1-line block ×3, first 2 shown]
	v_add_f32_e32 v30, v41, v42
	v_fmac_f32_e32 v12, 0xbf167918, v39
	v_add_f32_e32 v49, v49, v59
	v_add_f32_e32 v24, v26, v24
	v_mul_f32_e32 v26, 0x3f4f1bbd, v55
	v_fmac_f32_e32 v58, 0x3e9e377a, v30
	v_fmac_f32_e32 v12, 0x3e9e377a, v30
	v_mul_f32_e32 v30, 0x3e9e377a, v54
	v_mul_f32_e32 v34, 0x3e9e377a, v51
	;; [unrolled: 1-line block ×3, first 2 shown]
	v_add_f32_e32 v40, v40, v47
	v_fmac_f32_e32 v56, 0x3e9e377a, v49
	v_add_f32_e32 v23, v24, v23
	v_fmac_f32_e32 v26, 0x3f167918, v52
	v_fmac_f32_e32 v30, 0x3f737871, v53
	v_fma_f32 v24, 0x3f737871, v29, -v34
	v_fmac_f32_e32 v57, 0x3e9e377a, v49
	v_fma_f32 v29, 0x3f167918, v48, -v38
	v_add_f32_e32 v38, v40, v23
	v_add_f32_e32 v39, v56, v26
	;; [unrolled: 1-line block ×5, first 2 shown]
	v_sub_f32_e32 v23, v40, v23
	v_sub_f32_e32 v26, v56, v26
	;; [unrolled: 1-line block ×5, first 2 shown]
	s_waitcnt lgkmcnt(0)
	s_barrier
	buffer_gl0_inv
	ds_write2_b32 v25, v38, v39 offset1:8
	ds_write2_b32 v25, v41, v42 offset0:16 offset1:24
	ds_write2_b32 v25, v46, v23 offset0:32 offset1:40
	ds_write2_b32 v25, v26, v30 offset0:48 offset1:56
	ds_write2_b32 v25, v34, v12 offset0:64 offset1:72
	s_waitcnt lgkmcnt(0)
	s_barrier
	buffer_gl0_inv
	ds_read2_b32 v[25:26], v32 offset0:80 offset1:160
	ds_read2_b32 v[29:30], v27 offset0:112 offset1:192
	;; [unrolled: 1-line block ×3, first 2 shown]
	ds_read_b32 v33, v33
	ds_read_b32 v38, v32 offset:2240
	s_and_saveexec_b32 s1, s0
	s_cbranch_execz .LBB0_23
; %bb.22:
	v_add_nc_u32_e32 v5, 0x400, v32
	ds_read2_b32 v[23:24], v5 offset0:48 offset1:128
	v_add_nc_u32_e32 v5, 0x600, v32
	ds_read2_b32 v[12:13], v32 offset0:144 offset1:224
	ds_read_b32 v34, v31
	ds_read_b32 v8, v32 offset:2496
	ds_read2_b32 v[6:7], v5 offset0:80 offset1:160
	s_waitcnt lgkmcnt(4)
	v_mov_b32_e32 v14, v23
	v_mov_b32_e32 v5, v24
.LBB0_23:
	s_or_b32 exec_lo, exec_lo, s1
	s_and_saveexec_b32 s0, vcc_lo
	s_cbranch_execz .LBB0_26
; %bb.24:
	v_mul_u32_u24_e32 v23, 7, v43
	v_add_co_u32 v31, vcc_lo, s2, v15
	v_add_co_ci_u32_e32 v32, vcc_lo, s3, v16, vcc_lo
	v_lshlrev_b32_e32 v23, 3, v23
	v_add_co_u32 v15, vcc_lo, v31, v45
	v_add_co_ci_u32_e32 v16, vcc_lo, 0, v32, vcc_lo
	s_clause 0x3
	global_load_dwordx4 v[39:42], v23, s[8:9] offset:592
	global_load_dwordx4 v[46:49], v23, s[8:9] offset:576
	;; [unrolled: 1-line block ×3, first 2 shown]
	global_load_dwordx2 v[54:55], v23, s[8:9] offset:624
	v_cmp_gt_u32_e32 vcc_lo, 0x50, v44
	v_add_co_u32 v23, s0, 0x800, v15
	v_add_co_ci_u32_e64 v24, s0, 0, v16, s0
	s_waitcnt vmcnt(3)
	v_mul_f32_e32 v44, v18, v42
	s_waitcnt vmcnt(2)
	v_mul_f32_e32 v45, v20, v48
	s_waitcnt vmcnt(1)
	v_mul_f32_e32 v56, v22, v52
	v_mul_f32_e32 v57, v19, v47
	v_mul_f32_e32 v58, v21, v51
	;; [unrolled: 1-line block ×3, first 2 shown]
	s_waitcnt vmcnt(0)
	v_mul_f32_e32 v60, v36, v54
	v_mul_f32_e32 v17, v17, v40
	;; [unrolled: 1-line block ×3, first 2 shown]
	s_waitcnt lgkmcnt(4)
	v_mul_f32_e32 v47, v25, v47
	s_waitcnt lgkmcnt(2)
	v_mul_f32_e32 v51, v27, v51
	v_mul_f32_e32 v20, v20, v49
	;; [unrolled: 1-line block ×4, first 2 shown]
	v_fma_f32 v30, v30, v41, -v44
	v_fmac_f32_e32 v45, v26, v49
	v_fmac_f32_e32 v56, v28, v53
	v_fma_f32 v25, v25, v46, -v57
	v_fma_f32 v27, v27, v50, -v58
	v_fmac_f32_e32 v59, v29, v40
	s_waitcnt lgkmcnt(0)
	v_fmac_f32_e32 v60, v38, v55
	v_fma_f32 v29, v29, v39, -v17
	v_fma_f32 v17, v38, v54, -v36
	v_fmac_f32_e32 v47, v19, v46
	v_fmac_f32_e32 v51, v21, v50
	v_fma_f32 v19, v26, v48, -v20
	v_fma_f32 v20, v28, v52, -v22
	v_fmac_f32_e32 v42, v18, v41
	v_sub_f32_e32 v21, v33, v30
	v_sub_f32_e32 v22, v45, v56
	;; [unrolled: 1-line block ×10, first 2 shown]
	v_fma_f32 v33, v33, 2.0, -v21
	v_fma_f32 v42, v19, 2.0, -v20
	;; [unrolled: 1-line block ×8, first 2 shown]
	v_add_f32_e32 v40, v30, v28
	v_add_f32_e32 v41, v36, v20
	v_fmamk_f32 v20, v39, 0x3f3504f3, v38
	v_sub_f32_e32 v29, v33, v42
	v_sub_f32_e32 v27, v44, v27
	;; [unrolled: 1-line block ×4, first 2 shown]
	v_fma_f32 v46, v21, 2.0, -v38
	v_fma_f32 v47, v26, 2.0, -v39
	;; [unrolled: 1-line block ×4, first 2 shown]
	v_fmamk_f32 v19, v40, 0x3f3504f3, v41
	v_fmac_f32_e32 v20, 0xbf3504f3, v40
	v_fma_f32 v33, v33, 2.0, -v29
	v_fma_f32 v36, v45, 2.0, -v28
	;; [unrolled: 1-line block ×4, first 2 shown]
	v_sub_f32_e32 v22, v29, v27
	v_add_f32_e32 v21, v42, v28
	v_fmamk_f32 v26, v47, 0xbf3504f3, v46
	v_fmamk_f32 v25, v48, 0xbf3504f3, v49
	v_fmac_f32_e32 v19, 0x3f3504f3, v39
	v_add_co_u32 v17, s0, 0x1000, v15
	v_sub_f32_e32 v36, v33, v36
	v_sub_f32_e32 v35, v40, v35
	v_add_co_ci_u32_e64 v18, s0, 0, v16, s0
	v_fma_f32 v30, v29, 2.0, -v22
	v_fma_f32 v29, v42, 2.0, -v21
	v_fmac_f32_e32 v26, 0xbf3504f3, v48
	v_fmac_f32_e32 v25, 0x3f3504f3, v47
	v_fma_f32 v28, v38, 2.0, -v20
	v_fma_f32 v27, v41, 2.0, -v19
	;; [unrolled: 1-line block ×4, first 2 shown]
	global_store_dwordx2 v[23:24], v[21:22], off offset:1792
	v_fma_f32 v22, v46, 2.0, -v26
	v_fma_f32 v21, v49, 2.0, -v25
	global_store_dwordx2 v[15:16], v[29:30], off offset:1280
	global_store_dwordx2 v[15:16], v[27:28], off offset:1920
	;; [unrolled: 1-line block ×4, first 2 shown]
	global_store_dwordx2 v[15:16], v[38:39], off
	global_store_dwordx2 v[15:16], v[21:22], off offset:640
	global_store_dwordx2 v[17:18], v[19:20], off offset:384
	s_and_b32 exec_lo, exec_lo, vcc_lo
	s_cbranch_execz .LBB0_26
; %bb.25:
	v_add_nc_u32_e32 v19, -16, v43
	v_cmp_gt_u32_e32 vcc_lo, 0x50, v37
	v_mov_b32_e32 v20, 0
	v_lshl_or_b32 v33, v43, 3, 0xc00
	v_cndmask_b32_e32 v19, v19, v37, vcc_lo
	v_mul_i32_i24_e32 v19, 7, v19
	v_lshlrev_b64 v[19:20], 3, v[19:20]
	v_add_co_u32 v29, vcc_lo, s8, v19
	v_add_co_ci_u32_e32 v30, vcc_lo, s9, v20, vcc_lo
	v_add_co_u32 v31, vcc_lo, v31, v33
	s_clause 0x3
	global_load_dwordx4 v[19:22], v[29:30], off offset:576
	global_load_dwordx4 v[25:28], v[29:30], off offset:592
	global_load_dwordx4 v[35:38], v[29:30], off offset:608
	global_load_dwordx2 v[29:30], v[29:30], off offset:624
	v_add_co_ci_u32_e32 v32, vcc_lo, 0, v32, vcc_lo
	s_waitcnt vmcnt(3)
	v_mul_f32_e32 v33, v12, v20
	v_mul_f32_e32 v20, v9, v20
	v_mul_f32_e32 v39, v13, v22
	v_mul_f32_e32 v22, v10, v22
	s_waitcnt vmcnt(2)
	v_mul_f32_e32 v40, v14, v26
	v_mul_f32_e32 v26, v11, v26
	v_mul_f32_e32 v41, v5, v28
	v_mul_f32_e32 v28, v1, v28
	;; [unrolled: 5-line block ×3, first 2 shown]
	s_waitcnt vmcnt(0)
	v_mul_f32_e32 v44, v8, v30
	v_mul_f32_e32 v30, v4, v30
	v_fmac_f32_e32 v33, v9, v19
	v_fma_f32 v9, v12, v19, -v20
	v_fmac_f32_e32 v39, v10, v21
	v_fma_f32 v10, v13, v21, -v22
	;; [unrolled: 2-line block ×7, first 2 shown]
	v_sub_f32_e32 v5, v0, v41
	v_sub_f32_e32 v1, v34, v1
	;; [unrolled: 1-line block ×8, first 2 shown]
	v_fma_f32 v12, v0, 2.0, -v5
	v_fma_f32 v13, v34, 2.0, -v1
	;; [unrolled: 1-line block ×8, first 2 shown]
	v_add_f32_e32 v20, v5, v3
	v_sub_f32_e32 v21, v1, v6
	v_add_f32_e32 v6, v7, v4
	v_sub_f32_e32 v8, v2, v8
	v_sub_f32_e32 v22, v12, v0
	;; [unrolled: 1-line block ×3, first 2 shown]
	v_fma_f32 v25, v5, 2.0, -v20
	v_sub_f32_e32 v5, v14, v19
	v_sub_f32_e32 v4, v9, v11
	v_fma_f32 v26, v1, 2.0, -v21
	v_fma_f32 v11, v7, 2.0, -v6
	;; [unrolled: 1-line block ×3, first 2 shown]
	v_fmamk_f32 v0, v6, 0x3f3504f3, v20
	v_fmamk_f32 v1, v8, 0x3f3504f3, v21
	v_fma_f32 v12, v12, 2.0, -v22
	v_fma_f32 v13, v13, 2.0, -v10
	v_fma_f32 v7, v14, 2.0, -v5
	v_fma_f32 v9, v9, 2.0, -v4
	v_fmamk_f32 v2, v11, 0xbf3504f3, v25
	v_fmamk_f32 v3, v19, 0xbf3504f3, v26
	v_add_f32_e32 v4, v22, v4
	v_sub_f32_e32 v5, v10, v5
	v_fmac_f32_e32 v0, 0x3f3504f3, v8
	v_fmac_f32_e32 v1, 0xbf3504f3, v6
	v_sub_f32_e32 v6, v12, v7
	v_sub_f32_e32 v7, v13, v9
	v_fmac_f32_e32 v2, 0x3f3504f3, v19
	v_fmac_f32_e32 v3, 0xbf3504f3, v11
	v_fma_f32 v8, v22, 2.0, -v4
	v_fma_f32 v9, v10, 2.0, -v5
	;; [unrolled: 1-line block ×4, first 2 shown]
	global_store_dwordx2 v[17:18], v[4:5], off offset:256
	v_fma_f32 v4, v12, 2.0, -v6
	v_fma_f32 v5, v13, 2.0, -v7
	;; [unrolled: 1-line block ×4, first 2 shown]
	global_store_dwordx2 v[15:16], v[8:9], off offset:1792
	global_store_dwordx2 v[23:24], v[10:11], off offset:384
	global_store_dwordx2 v[31:32], v[6:7], off
	global_store_dwordx2 v[23:24], v[2:3], off offset:1664
	global_store_dwordx2 v[15:16], v[4:5], off offset:512
	;; [unrolled: 1-line block ×4, first 2 shown]
.LBB0_26:
	s_endpgm
	.section	.rodata,"a",@progbits
	.p2align	6, 0x0
	.amdhsa_kernel fft_rtc_back_len640_factors_8_10_8_wgs_128_tpt_64_halfLds_sp_ip_CI_unitstride_sbrr_dirReg
		.amdhsa_group_segment_fixed_size 0
		.amdhsa_private_segment_fixed_size 0
		.amdhsa_kernarg_size 88
		.amdhsa_user_sgpr_count 6
		.amdhsa_user_sgpr_private_segment_buffer 1
		.amdhsa_user_sgpr_dispatch_ptr 0
		.amdhsa_user_sgpr_queue_ptr 0
		.amdhsa_user_sgpr_kernarg_segment_ptr 1
		.amdhsa_user_sgpr_dispatch_id 0
		.amdhsa_user_sgpr_flat_scratch_init 0
		.amdhsa_user_sgpr_private_segment_size 0
		.amdhsa_wavefront_size32 1
		.amdhsa_uses_dynamic_stack 0
		.amdhsa_system_sgpr_private_segment_wavefront_offset 0
		.amdhsa_system_sgpr_workgroup_id_x 1
		.amdhsa_system_sgpr_workgroup_id_y 0
		.amdhsa_system_sgpr_workgroup_id_z 0
		.amdhsa_system_sgpr_workgroup_info 0
		.amdhsa_system_vgpr_workitem_id 0
		.amdhsa_next_free_vgpr 71
		.amdhsa_next_free_sgpr 21
		.amdhsa_reserve_vcc 1
		.amdhsa_reserve_flat_scratch 0
		.amdhsa_float_round_mode_32 0
		.amdhsa_float_round_mode_16_64 0
		.amdhsa_float_denorm_mode_32 3
		.amdhsa_float_denorm_mode_16_64 3
		.amdhsa_dx10_clamp 1
		.amdhsa_ieee_mode 1
		.amdhsa_fp16_overflow 0
		.amdhsa_workgroup_processor_mode 1
		.amdhsa_memory_ordered 1
		.amdhsa_forward_progress 0
		.amdhsa_shared_vgpr_count 0
		.amdhsa_exception_fp_ieee_invalid_op 0
		.amdhsa_exception_fp_denorm_src 0
		.amdhsa_exception_fp_ieee_div_zero 0
		.amdhsa_exception_fp_ieee_overflow 0
		.amdhsa_exception_fp_ieee_underflow 0
		.amdhsa_exception_fp_ieee_inexact 0
		.amdhsa_exception_int_div_zero 0
	.end_amdhsa_kernel
	.text
.Lfunc_end0:
	.size	fft_rtc_back_len640_factors_8_10_8_wgs_128_tpt_64_halfLds_sp_ip_CI_unitstride_sbrr_dirReg, .Lfunc_end0-fft_rtc_back_len640_factors_8_10_8_wgs_128_tpt_64_halfLds_sp_ip_CI_unitstride_sbrr_dirReg
                                        ; -- End function
	.section	.AMDGPU.csdata,"",@progbits
; Kernel info:
; codeLenInByte = 5468
; NumSgprs: 23
; NumVgprs: 71
; ScratchSize: 0
; MemoryBound: 0
; FloatMode: 240
; IeeeMode: 1
; LDSByteSize: 0 bytes/workgroup (compile time only)
; SGPRBlocks: 2
; VGPRBlocks: 8
; NumSGPRsForWavesPerEU: 23
; NumVGPRsForWavesPerEU: 71
; Occupancy: 12
; WaveLimiterHint : 1
; COMPUTE_PGM_RSRC2:SCRATCH_EN: 0
; COMPUTE_PGM_RSRC2:USER_SGPR: 6
; COMPUTE_PGM_RSRC2:TRAP_HANDLER: 0
; COMPUTE_PGM_RSRC2:TGID_X_EN: 1
; COMPUTE_PGM_RSRC2:TGID_Y_EN: 0
; COMPUTE_PGM_RSRC2:TGID_Z_EN: 0
; COMPUTE_PGM_RSRC2:TIDIG_COMP_CNT: 0
	.text
	.p2alignl 6, 3214868480
	.fill 48, 4, 3214868480
	.type	__hip_cuid_b57b4a0950069b2b,@object ; @__hip_cuid_b57b4a0950069b2b
	.section	.bss,"aw",@nobits
	.globl	__hip_cuid_b57b4a0950069b2b
__hip_cuid_b57b4a0950069b2b:
	.byte	0                               ; 0x0
	.size	__hip_cuid_b57b4a0950069b2b, 1

	.ident	"AMD clang version 19.0.0git (https://github.com/RadeonOpenCompute/llvm-project roc-6.4.0 25133 c7fe45cf4b819c5991fe208aaa96edf142730f1d)"
	.section	".note.GNU-stack","",@progbits
	.addrsig
	.addrsig_sym __hip_cuid_b57b4a0950069b2b
	.amdgpu_metadata
---
amdhsa.kernels:
  - .args:
      - .actual_access:  read_only
        .address_space:  global
        .offset:         0
        .size:           8
        .value_kind:     global_buffer
      - .offset:         8
        .size:           8
        .value_kind:     by_value
      - .actual_access:  read_only
        .address_space:  global
        .offset:         16
        .size:           8
        .value_kind:     global_buffer
      - .actual_access:  read_only
        .address_space:  global
        .offset:         24
        .size:           8
        .value_kind:     global_buffer
      - .offset:         32
        .size:           8
        .value_kind:     by_value
      - .actual_access:  read_only
        .address_space:  global
        .offset:         40
        .size:           8
        .value_kind:     global_buffer
      - .actual_access:  read_only
        .address_space:  global
        .offset:         48
        .size:           8
        .value_kind:     global_buffer
      - .offset:         56
        .size:           4
        .value_kind:     by_value
      - .actual_access:  read_only
        .address_space:  global
        .offset:         64
        .size:           8
        .value_kind:     global_buffer
      - .actual_access:  read_only
        .address_space:  global
        .offset:         72
        .size:           8
        .value_kind:     global_buffer
      - .address_space:  global
        .offset:         80
        .size:           8
        .value_kind:     global_buffer
    .group_segment_fixed_size: 0
    .kernarg_segment_align: 8
    .kernarg_segment_size: 88
    .language:       OpenCL C
    .language_version:
      - 2
      - 0
    .max_flat_workgroup_size: 128
    .name:           fft_rtc_back_len640_factors_8_10_8_wgs_128_tpt_64_halfLds_sp_ip_CI_unitstride_sbrr_dirReg
    .private_segment_fixed_size: 0
    .sgpr_count:     23
    .sgpr_spill_count: 0
    .symbol:         fft_rtc_back_len640_factors_8_10_8_wgs_128_tpt_64_halfLds_sp_ip_CI_unitstride_sbrr_dirReg.kd
    .uniform_work_group_size: 1
    .uses_dynamic_stack: false
    .vgpr_count:     71
    .vgpr_spill_count: 0
    .wavefront_size: 32
    .workgroup_processor_mode: 1
amdhsa.target:   amdgcn-amd-amdhsa--gfx1030
amdhsa.version:
  - 1
  - 2
...

	.end_amdgpu_metadata
